;; amdgpu-corpus repo=ROCm/rocFFT kind=compiled arch=gfx1030 opt=O3
	.text
	.amdgcn_target "amdgcn-amd-amdhsa--gfx1030"
	.amdhsa_code_object_version 6
	.protected	fft_rtc_fwd_len1600_factors_10_16_10_wgs_200_tpt_100_halfLds_half_ip_CI_unitstride_sbrr_dirReg ; -- Begin function fft_rtc_fwd_len1600_factors_10_16_10_wgs_200_tpt_100_halfLds_half_ip_CI_unitstride_sbrr_dirReg
	.globl	fft_rtc_fwd_len1600_factors_10_16_10_wgs_200_tpt_100_halfLds_half_ip_CI_unitstride_sbrr_dirReg
	.p2align	8
	.type	fft_rtc_fwd_len1600_factors_10_16_10_wgs_200_tpt_100_halfLds_half_ip_CI_unitstride_sbrr_dirReg,@function
fft_rtc_fwd_len1600_factors_10_16_10_wgs_200_tpt_100_halfLds_half_ip_CI_unitstride_sbrr_dirReg: ; @fft_rtc_fwd_len1600_factors_10_16_10_wgs_200_tpt_100_halfLds_half_ip_CI_unitstride_sbrr_dirReg
; %bb.0:
	s_clause 0x2
	s_load_dwordx4 s[8:11], s[4:5], 0x0
	s_load_dwordx2 s[2:3], s[4:5], 0x50
	s_load_dwordx2 s[12:13], s[4:5], 0x18
	v_mul_u32_u24_e32 v1, 0x290, v0
	v_mov_b32_e32 v3, 0
	v_lshrrev_b32_e32 v12, 16, v1
	v_mov_b32_e32 v1, 0
	v_mov_b32_e32 v6, v3
	v_mov_b32_e32 v2, 0
	v_lshl_add_u32 v5, s6, 1, v12
	s_waitcnt lgkmcnt(0)
	v_cmp_lt_u64_e64 s0, s[10:11], 2
	s_and_b32 vcc_lo, exec_lo, s0
	s_cbranch_vccnz .LBB0_8
; %bb.1:
	s_load_dwordx2 s[0:1], s[4:5], 0x10
	v_mov_b32_e32 v1, 0
	s_add_u32 s6, s12, 8
	v_mov_b32_e32 v2, 0
	s_addc_u32 s7, s13, 0
	s_mov_b64 s[16:17], 1
	s_waitcnt lgkmcnt(0)
	s_add_u32 s14, s0, 8
	s_addc_u32 s15, s1, 0
.LBB0_2:                                ; =>This Inner Loop Header: Depth=1
	s_load_dwordx2 s[18:19], s[14:15], 0x0
                                        ; implicit-def: $vgpr7_vgpr8
	s_mov_b32 s0, exec_lo
	s_waitcnt lgkmcnt(0)
	v_or_b32_e32 v4, s19, v6
	v_cmpx_ne_u64_e32 0, v[3:4]
	s_xor_b32 s1, exec_lo, s0
	s_cbranch_execz .LBB0_4
; %bb.3:                                ;   in Loop: Header=BB0_2 Depth=1
	v_cvt_f32_u32_e32 v4, s18
	v_cvt_f32_u32_e32 v7, s19
	s_sub_u32 s0, 0, s18
	s_subb_u32 s20, 0, s19
	v_fmac_f32_e32 v4, 0x4f800000, v7
	v_rcp_f32_e32 v4, v4
	v_mul_f32_e32 v4, 0x5f7ffffc, v4
	v_mul_f32_e32 v7, 0x2f800000, v4
	v_trunc_f32_e32 v7, v7
	v_fmac_f32_e32 v4, 0xcf800000, v7
	v_cvt_u32_f32_e32 v7, v7
	v_cvt_u32_f32_e32 v4, v4
	v_mul_lo_u32 v8, s0, v7
	v_mul_hi_u32 v9, s0, v4
	v_mul_lo_u32 v10, s20, v4
	v_add_nc_u32_e32 v8, v9, v8
	v_mul_lo_u32 v9, s0, v4
	v_add_nc_u32_e32 v8, v8, v10
	v_mul_hi_u32 v10, v4, v9
	v_mul_lo_u32 v11, v4, v8
	v_mul_hi_u32 v13, v4, v8
	v_mul_hi_u32 v14, v7, v9
	v_mul_lo_u32 v9, v7, v9
	v_mul_hi_u32 v15, v7, v8
	v_mul_lo_u32 v8, v7, v8
	v_add_co_u32 v10, vcc_lo, v10, v11
	v_add_co_ci_u32_e32 v11, vcc_lo, 0, v13, vcc_lo
	v_add_co_u32 v9, vcc_lo, v10, v9
	v_add_co_ci_u32_e32 v9, vcc_lo, v11, v14, vcc_lo
	v_add_co_ci_u32_e32 v10, vcc_lo, 0, v15, vcc_lo
	v_add_co_u32 v8, vcc_lo, v9, v8
	v_add_co_ci_u32_e32 v9, vcc_lo, 0, v10, vcc_lo
	v_add_co_u32 v4, vcc_lo, v4, v8
	v_add_co_ci_u32_e32 v7, vcc_lo, v7, v9, vcc_lo
	v_mul_hi_u32 v8, s0, v4
	v_mul_lo_u32 v10, s20, v4
	v_mul_lo_u32 v9, s0, v7
	v_add_nc_u32_e32 v8, v8, v9
	v_mul_lo_u32 v9, s0, v4
	v_add_nc_u32_e32 v8, v8, v10
	v_mul_hi_u32 v10, v4, v9
	v_mul_lo_u32 v11, v4, v8
	v_mul_hi_u32 v13, v4, v8
	v_mul_hi_u32 v14, v7, v9
	v_mul_lo_u32 v9, v7, v9
	v_mul_hi_u32 v15, v7, v8
	v_mul_lo_u32 v8, v7, v8
	v_add_co_u32 v10, vcc_lo, v10, v11
	v_add_co_ci_u32_e32 v11, vcc_lo, 0, v13, vcc_lo
	v_add_co_u32 v9, vcc_lo, v10, v9
	v_add_co_ci_u32_e32 v9, vcc_lo, v11, v14, vcc_lo
	v_add_co_ci_u32_e32 v10, vcc_lo, 0, v15, vcc_lo
	v_add_co_u32 v8, vcc_lo, v9, v8
	v_add_co_ci_u32_e32 v9, vcc_lo, 0, v10, vcc_lo
	v_add_co_u32 v4, vcc_lo, v4, v8
	v_add_co_ci_u32_e32 v11, vcc_lo, v7, v9, vcc_lo
	v_mul_hi_u32 v15, v5, v4
	v_mad_u64_u32 v[9:10], null, v6, v4, 0
	v_mad_u64_u32 v[7:8], null, v5, v11, 0
	;; [unrolled: 1-line block ×3, first 2 shown]
	v_add_co_u32 v4, vcc_lo, v15, v7
	v_add_co_ci_u32_e32 v7, vcc_lo, 0, v8, vcc_lo
	v_add_co_u32 v4, vcc_lo, v4, v9
	v_add_co_ci_u32_e32 v4, vcc_lo, v7, v10, vcc_lo
	v_add_co_ci_u32_e32 v7, vcc_lo, 0, v14, vcc_lo
	v_add_co_u32 v4, vcc_lo, v4, v13
	v_add_co_ci_u32_e32 v9, vcc_lo, 0, v7, vcc_lo
	v_mul_lo_u32 v10, s19, v4
	v_mad_u64_u32 v[7:8], null, s18, v4, 0
	v_mul_lo_u32 v11, s18, v9
	v_sub_co_u32 v7, vcc_lo, v5, v7
	v_add3_u32 v8, v8, v11, v10
	v_sub_nc_u32_e32 v10, v6, v8
	v_subrev_co_ci_u32_e64 v10, s0, s19, v10, vcc_lo
	v_add_co_u32 v11, s0, v4, 2
	v_add_co_ci_u32_e64 v13, s0, 0, v9, s0
	v_sub_co_u32 v14, s0, v7, s18
	v_sub_co_ci_u32_e32 v8, vcc_lo, v6, v8, vcc_lo
	v_subrev_co_ci_u32_e64 v10, s0, 0, v10, s0
	v_cmp_le_u32_e32 vcc_lo, s18, v14
	v_cmp_eq_u32_e64 s0, s19, v8
	v_cndmask_b32_e64 v14, 0, -1, vcc_lo
	v_cmp_le_u32_e32 vcc_lo, s19, v10
	v_cndmask_b32_e64 v15, 0, -1, vcc_lo
	v_cmp_le_u32_e32 vcc_lo, s18, v7
	;; [unrolled: 2-line block ×3, first 2 shown]
	v_cndmask_b32_e64 v16, 0, -1, vcc_lo
	v_cmp_eq_u32_e32 vcc_lo, s19, v10
	v_cndmask_b32_e64 v7, v16, v7, s0
	v_cndmask_b32_e32 v10, v15, v14, vcc_lo
	v_add_co_u32 v14, vcc_lo, v4, 1
	v_add_co_ci_u32_e32 v15, vcc_lo, 0, v9, vcc_lo
	v_cmp_ne_u32_e32 vcc_lo, 0, v10
	v_cndmask_b32_e32 v8, v15, v13, vcc_lo
	v_cndmask_b32_e32 v10, v14, v11, vcc_lo
	v_cmp_ne_u32_e32 vcc_lo, 0, v7
	v_cndmask_b32_e32 v8, v9, v8, vcc_lo
	v_cndmask_b32_e32 v7, v4, v10, vcc_lo
.LBB0_4:                                ;   in Loop: Header=BB0_2 Depth=1
	s_andn2_saveexec_b32 s0, s1
	s_cbranch_execz .LBB0_6
; %bb.5:                                ;   in Loop: Header=BB0_2 Depth=1
	v_cvt_f32_u32_e32 v4, s18
	s_sub_i32 s1, 0, s18
	v_rcp_iflag_f32_e32 v4, v4
	v_mul_f32_e32 v4, 0x4f7ffffe, v4
	v_cvt_u32_f32_e32 v4, v4
	v_mul_lo_u32 v7, s1, v4
	v_mul_hi_u32 v7, v4, v7
	v_add_nc_u32_e32 v4, v4, v7
	v_mul_hi_u32 v4, v5, v4
	v_mul_lo_u32 v7, v4, s18
	v_add_nc_u32_e32 v8, 1, v4
	v_sub_nc_u32_e32 v7, v5, v7
	v_subrev_nc_u32_e32 v9, s18, v7
	v_cmp_le_u32_e32 vcc_lo, s18, v7
	v_cndmask_b32_e32 v7, v7, v9, vcc_lo
	v_cndmask_b32_e32 v4, v4, v8, vcc_lo
	v_cmp_le_u32_e32 vcc_lo, s18, v7
	v_add_nc_u32_e32 v8, 1, v4
	v_cndmask_b32_e32 v7, v4, v8, vcc_lo
	v_mov_b32_e32 v8, v3
.LBB0_6:                                ;   in Loop: Header=BB0_2 Depth=1
	s_or_b32 exec_lo, exec_lo, s0
	s_load_dwordx2 s[0:1], s[6:7], 0x0
	v_mul_lo_u32 v4, v8, s18
	v_mul_lo_u32 v11, v7, s19
	v_mad_u64_u32 v[9:10], null, v7, s18, 0
	s_add_u32 s16, s16, 1
	s_addc_u32 s17, s17, 0
	s_add_u32 s6, s6, 8
	s_addc_u32 s7, s7, 0
	;; [unrolled: 2-line block ×3, first 2 shown]
	v_add3_u32 v4, v10, v11, v4
	v_sub_co_u32 v5, vcc_lo, v5, v9
	v_sub_co_ci_u32_e32 v4, vcc_lo, v6, v4, vcc_lo
	s_waitcnt lgkmcnt(0)
	v_mul_lo_u32 v6, s1, v5
	v_mul_lo_u32 v4, s0, v4
	v_mad_u64_u32 v[1:2], null, s0, v5, v[1:2]
	v_cmp_ge_u64_e64 s0, s[16:17], s[10:11]
	s_and_b32 vcc_lo, exec_lo, s0
	v_add3_u32 v2, v6, v2, v4
	s_cbranch_vccnz .LBB0_9
; %bb.7:                                ;   in Loop: Header=BB0_2 Depth=1
	v_mov_b32_e32 v5, v7
	v_mov_b32_e32 v6, v8
	s_branch .LBB0_2
.LBB0_8:
	v_mov_b32_e32 v8, v6
	v_mov_b32_e32 v7, v5
.LBB0_9:
	s_lshl_b64 s[0:1], s[10:11], 3
	v_mul_hi_u32 v3, 0x28f5c29, v0
	s_add_u32 s0, s12, s0
	s_addc_u32 s1, s13, s1
                                        ; implicit-def: $vgpr26
                                        ; implicit-def: $vgpr13
                                        ; implicit-def: $vgpr29
                                        ; implicit-def: $vgpr17
                                        ; implicit-def: $vgpr16
                                        ; implicit-def: $vgpr25
                                        ; implicit-def: $vgpr24
                                        ; implicit-def: $vgpr20
                                        ; implicit-def: $vgpr14
                                        ; implicit-def: $vgpr23
                                        ; implicit-def: $vgpr15
                                        ; implicit-def: $vgpr21
                                        ; implicit-def: $vgpr22
                                        ; implicit-def: $vgpr19
                                        ; implicit-def: $vgpr18
                                        ; implicit-def: $vgpr28
                                        ; implicit-def: $vgpr30
                                        ; implicit-def: $vgpr31
                                        ; implicit-def: $vgpr10
                                        ; implicit-def: $vgpr11
	s_load_dwordx2 s[0:1], s[0:1], 0x0
	s_load_dwordx2 s[4:5], s[4:5], 0x20
	v_mul_u32_u24_e32 v3, 0x64, v3
	s_waitcnt lgkmcnt(0)
	v_mul_lo_u32 v4, s0, v8
	v_mul_lo_u32 v5, s1, v7
	v_mad_u64_u32 v[1:2], null, s0, v7, v[1:2]
	v_cmp_gt_u64_e32 vcc_lo, s[4:5], v[7:8]
                                        ; implicit-def: $vgpr7
	v_add3_u32 v2, v5, v2, v4
	v_sub_nc_u32_e32 v4, v0, v3
                                        ; implicit-def: $vgpr5
                                        ; implicit-def: $vgpr0
                                        ; implicit-def: $vgpr3
	v_lshlrev_b64 v[8:9], 2, v[1:2]
	v_or_b32_e32 v6, 0x500, v4
                                        ; implicit-def: $vgpr2
                                        ; implicit-def: $vgpr1
	s_and_saveexec_b32 s1, vcc_lo
	s_cbranch_execz .LBB0_13
; %bb.10:
	v_mov_b32_e32 v5, 0
	v_or_b32_e32 v0, 0x280, v4
	v_add_co_u32 v13, s0, s2, v8
	v_add_co_ci_u32_e64 v19, s0, s3, v9, s0
	v_mov_b32_e32 v1, v5
	v_lshlrev_b64 v[2:3], 2, v[4:5]
	v_mov_b32_e32 v7, v5
	s_mov_b32 s4, exec_lo
                                        ; implicit-def: $vgpr28
                                        ; implicit-def: $vgpr22
                                        ; implicit-def: $vgpr21
                                        ; implicit-def: $vgpr23
                                        ; implicit-def: $vgpr20
                                        ; implicit-def: $vgpr5
                                        ; implicit-def: $vgpr24
                                        ; implicit-def: $vgpr25
	v_lshlrev_b64 v[10:11], 2, v[0:1]
	v_add_co_u32 v0, s0, v13, v2
	v_add_co_ci_u32_e64 v1, s0, v19, v3, s0
	v_add_co_u32 v14, s0, v13, v10
	v_add_co_ci_u32_e64 v15, s0, v19, v11, s0
	v_add_co_u32 v2, s0, 0x800, v0
	v_lshlrev_b64 v[16:17], 2, v[6:7]
	v_add_co_ci_u32_e64 v3, s0, 0, v1, s0
	v_add_co_u32 v10, s0, 0x1000, v0
	v_add_co_ci_u32_e64 v11, s0, 0, v1, s0
	v_add_co_u32 v18, s0, v13, v16
	v_add_co_ci_u32_e64 v19, s0, v19, v17, s0
	s_clause 0x9
	global_load_dword v13, v[0:1], off
	global_load_dword v17, v[0:1], off offset:640
	global_load_dword v30, v[0:1], off offset:1280
	;; [unrolled: 1-line block ×3, first 2 shown]
	global_load_dword v31, v[14:15], off
	global_load_dword v32, v[2:3], off offset:1152
	global_load_dword v34, v[2:3], off offset:1792
	global_load_dword v33, v[10:11], off offset:384
	global_load_dword v36, v[18:19], off
	global_load_dword v35, v[10:11], off offset:1664
                                        ; implicit-def: $vgpr18
                                        ; implicit-def: $vgpr19
                                        ; implicit-def: $vgpr15
                                        ; implicit-def: $vgpr7
                                        ; implicit-def: $vgpr14
                                        ; implicit-def: $vgpr16
	v_cmpx_gt_u32_e32 60, v4
	s_cbranch_execz .LBB0_12
; %bb.11:
	v_add_co_u32 v23, s0, 0x1800, v0
	s_clause 0x4
	global_load_dword v16, v[0:1], off offset:400
	global_load_dword v15, v[0:1], off offset:1680
	global_load_dword v5, v[2:3], off offset:912
	global_load_dword v7, v[10:11], off offset:144
	global_load_dword v14, v[10:11], off offset:1424
	v_add_co_ci_u32_e64 v24, s0, 0, v1, s0
	s_clause 0x4
	global_load_dword v19, v[10:11], off offset:784
	global_load_dword v21, v[2:3], off offset:1552
	;; [unrolled: 1-line block ×5, first 2 shown]
	s_waitcnt vmcnt(8)
	v_lshrrev_b32_e32 v25, 16, v15
	s_waitcnt vmcnt(7)
	v_lshrrev_b32_e32 v24, 16, v5
	;; [unrolled: 2-line block ×4, first 2 shown]
	v_bfi_b32 v15, 0xffff, v15, v16
.LBB0_12:
	s_or_b32 exec_lo, exec_lo, s4
	s_waitcnt vmcnt(9)
	v_lshrrev_b32_e32 v26, 16, v13
	s_waitcnt vmcnt(8)
	v_lshrrev_b32_e32 v29, 16, v17
	s_waitcnt vmcnt(5)
	v_perm_b32 v2, v31, v30, 0x7060302
	s_waitcnt vmcnt(1)
	v_perm_b32 v0, v34, v36, 0x7060302
	v_perm_b32 v30, v31, v30, 0x5040100
	;; [unrolled: 1-line block ×4, first 2 shown]
	s_waitcnt vmcnt(0)
	v_perm_b32 v1, v33, v35, 0x7060302
	v_perm_b32 v10, v32, v27, 0x5040100
	;; [unrolled: 1-line block ×3, first 2 shown]
.LBB0_13:
	s_or_b32 exec_lo, exec_lo, s1
	v_add_f16_e32 v32, v10, v17
	v_and_b32_e32 v12, 1, v12
	v_pk_add_f16 v33, v3, v1 neg_lo:[0,1] neg_hi:[0,1]
	v_pk_add_f16 v34, v10, v11
	v_pk_add_f16 v35, v3, v1
	v_add_f16_sdwa v32, v32, v10 dst_sel:DWORD dst_unused:UNUSED_PAD src0_sel:DWORD src1_sel:WORD_1
	v_cmp_eq_u32_e64 s0, 1, v12
	v_pk_add_f16 v38, v1, v1 op_sel:[0,1] op_sel_hi:[1,0] neg_lo:[0,1] neg_hi:[0,1]
	v_pk_fma_f16 v12, v34, 0.5, v17 op_sel_hi:[1,0,0] neg_lo:[1,0,0] neg_hi:[1,0,0]
	v_pk_mul_f16 v17, 0x3b9c, v33 op_sel_hi:[0,1]
	v_add_f16_sdwa v32, v32, v11 dst_sel:DWORD dst_unused:UNUSED_PAD src0_sel:DWORD src1_sel:WORD_1
	v_pk_fma_f16 v34, v35, 0.5, v29 op_sel_hi:[1,0,0] neg_lo:[1,0,0] neg_hi:[1,0,0]
	v_pk_mul_f16 v33, 0x38b4, v33 op_sel_hi:[0,1]
	v_pk_add_f16 v42, v21, v19 neg_lo:[0,1] neg_hi:[0,1]
	v_pk_add_f16 v36, v12, v17 op_sel:[0,1] op_sel_hi:[1,0]
	v_add_f16_e32 v53, v32, v11
	v_pk_add_f16 v32, v10, v11 neg_lo:[0,1] neg_hi:[0,1]
	v_pk_add_f16 v12, v12, v17 op_sel:[0,1] op_sel_hi:[1,0] neg_lo:[0,1] neg_hi:[0,1]
	v_pk_add_f16 v10, v10, v10 op_sel:[0,1] op_sel_hi:[1,0] neg_lo:[0,1] neg_hi:[0,1]
	;; [unrolled: 1-line block ×3, first 2 shown]
	v_pk_add_f16 v49, v19, v18 neg_lo:[0,1] neg_hi:[0,1]
	v_pk_fma_f16 v17, 0x3b9c, v32, v34 op_sel:[0,0,1] op_sel_hi:[0,1,0] neg_lo:[0,1,0] neg_hi:[0,1,0]
	v_pk_fma_f16 v34, 0x3b9c, v32, v34 op_sel:[0,0,1] op_sel_hi:[0,1,0]
	v_alignbit_b32 v35, v12, v36, 16
	v_alignbit_b32 v12, v36, v12, 16
	v_pk_mul_f16 v37, 0x38b4, v32 op_sel_hi:[0,1]
	v_pk_add_f16 v32, v3, v3 op_sel:[0,1] op_sel_hi:[1,0] neg_lo:[0,1] neg_hi:[0,1]
	v_bfi_b32 v39, 0xffff, v17, v34
	v_pk_add_f16 v10, v10, v11
	v_pk_add_f16 v35, v33, v35 op_sel:[1,0] op_sel_hi:[0,1]
	v_bfi_b32 v17, 0xffff, v34, v17
	v_pk_add_f16 v12, v12, v33 op_sel:[0,1] op_sel_hi:[1,0] neg_lo:[0,1] neg_hi:[0,1]
	v_add_f16_e32 v11, v5, v7
	v_pk_add_f16 v38, v32, v38
	v_pk_add_f16 v32, v39, v37 op_sel:[0,1] op_sel_hi:[1,0] neg_lo:[0,1] neg_hi:[0,1]
	v_pk_fma_f16 v35, 0x34f2, v10, v35 op_sel_hi:[0,1,1]
	v_sub_f16_e32 v36, v15, v5
	v_sub_f16_e32 v39, v14, v7
	v_pk_add_f16 v17, v37, v17 op_sel:[1,0] op_sel_hi:[0,1]
	v_pk_fma_f16 v33, 0x34f2, v10, v12 op_sel_hi:[0,1,1]
	v_pk_add_f16 v10, v22, v21 neg_lo:[0,1] neg_hi:[0,1]
	v_pk_add_f16 v12, v18, v19 neg_lo:[0,1] neg_hi:[0,1]
	v_fma_f16 v41, -0.5, v11, v16
	v_sub_f16_e32 v11, v25, v20
	v_pk_fma_f16 v32, 0x34f2, v38, v32 op_sel_hi:[0,1,1]
	v_add_f16_e32 v37, v15, v14
	v_add_f16_e32 v36, v36, v39
	v_pk_fma_f16 v38, 0x34f2, v38, v17 op_sel_hi:[0,1,1]
	v_add_f16_e32 v17, v21, v19
	v_pk_add_f16 v39, v22, v18 neg_lo:[0,1] neg_hi:[0,1]
	v_pk_add_f16 v10, v10, v12
	v_fmamk_f16 v40, v11, 0x3b9c, v41
	v_sub_f16_e32 v34, v24, v23
	v_fmac_f16_e32 v41, 0xbb9c, v11
	v_fma_f16 v47, -0.5, v37, v16
	v_fma_f16 v17, -0.5, v17, v28
	v_lshrrev_b32_e32 v43, 16, v39
	v_bfi_b32 v10, 0xffff, v10, v42
	v_fmac_f16_e32 v40, 0x38b4, v34
	v_fmac_f16_e32 v41, 0xb8b4, v34
	v_fmamk_f16 v48, v34, 0xbb9c, v47
	v_sub_f16_e32 v12, v5, v15
	v_sub_f16_e32 v37, v7, v14
	v_fmac_f16_e32 v47, 0x3b9c, v34
	v_fmamk_f16 v34, v43, 0x3b9c, v17
	v_pk_mul_f16 v10, 0x38b434f2, v10
	v_fmac_f16_e32 v17, 0xbb9c, v43
	v_fmac_f16_e32 v48, 0x38b4, v11
	v_add_f16_e32 v12, v12, v37
	v_fmac_f16_e32 v47, 0xb8b4, v11
	v_add_f16_sdwa v11, v10, v34 dst_sel:DWORD dst_unused:UNUSED_PAD src0_sel:WORD_1 src1_sel:DWORD
	v_sub_f16_sdwa v17, v17, v10 dst_sel:DWORD dst_unused:UNUSED_PAD src0_sel:DWORD src1_sel:WORD_1
	v_pk_add_f16 v37, v22, v18
	v_fmac_f16_e32 v40, 0x34f2, v36
	v_fmac_f16_e32 v41, 0x34f2, v36
	v_lshrrev_b32_e32 v43, 16, v28
	v_add_f16_sdwa v36, v21, v19 dst_sel:DWORD dst_unused:UNUSED_PAD src0_sel:WORD_1 src1_sel:WORD_1
	v_add_f16_e32 v34, v10, v11
	v_add_f16_e32 v44, v10, v17
	v_pk_fma_f16 v10, v37, 0.5, v28 op_sel_hi:[1,0,1] neg_lo:[1,0,0] neg_hi:[1,0,0]
	v_pk_mul_f16 v11, 0x3b9c, v42 op_sel_hi:[0,1]
	v_fmac_f16_e32 v48, 0x34f2, v12
	v_fmac_f16_e32 v47, 0x34f2, v12
	v_fma_f16 v45, -0.5, v36, v43
	v_pk_add_f16 v12, v21, v22 neg_lo:[0,1] neg_hi:[0,1]
	v_pk_add_f16 v46, v10, v11 op_sel:[0,1] op_sel_hi:[1,0]
	v_pk_mul_f16 v50, 0x38b4, v39 op_sel_hi:[0,1]
	v_pk_add_f16 v10, v10, v11 op_sel:[0,1] op_sel_hi:[1,0] neg_lo:[0,1] neg_hi:[0,1]
	v_fmamk_f16 v37, v39, 0xbb9c, v45
	v_sub_f16_sdwa v17, v22, v21 dst_sel:DWORD dst_unused:UNUSED_PAD src0_sel:WORD_1 src1_sel:WORD_1
	v_sub_f16_sdwa v36, v18, v19 dst_sel:DWORD dst_unused:UNUSED_PAD src0_sel:WORD_1 src1_sel:WORD_1
	v_fmac_f16_e32 v45, 0x3b9c, v39
	v_pk_add_f16 v12, v12, v49
	v_pk_add_f16 v10, v50, v10 op_sel:[1,0] op_sel_hi:[0,1]
	v_fmac_f16_e32 v37, 0xb8b4, v42
	v_add_f16_e32 v17, v17, v36
	v_fmac_f16_e32 v45, 0x38b4, v42
	v_pk_add_f16 v42, v2, v0 neg_lo:[0,1] neg_hi:[0,1]
	v_pk_fma_f16 v39, 0x34f2, v12, v10 op_sel_hi:[0,1,1]
	v_pk_add_f16 v10, v30, v31
	v_add_f16_e32 v27, v30, v13
	v_pk_add_f16 v36, v46, v50 op_sel:[0,1] op_sel_hi:[1,0] neg_lo:[0,1] neg_hi:[0,1]
	v_fmac_f16_e32 v37, 0x34f2, v17
	v_fmac_f16_e32 v45, 0x34f2, v17
	v_mul_f16_e32 v17, 0x3a79, v44
	v_pk_fma_f16 v13, v10, 0.5, v13 op_sel_hi:[1,0,0] neg_lo:[1,0,0] neg_hi:[1,0,0]
	v_pk_mul_f16 v46, 0x3b9c, v42 op_sel_hi:[0,1]
	v_add_f16_sdwa v27, v27, v30 dst_sel:DWORD dst_unused:UNUSED_PAD src0_sel:DWORD src1_sel:WORD_1
	v_pk_add_f16 v54, v31, v31 op_sel:[0,1] op_sel_hi:[1,0] neg_lo:[0,1] neg_hi:[0,1]
	v_fma_f16 v52, v45, 0x38b4, -v17
	v_pk_mul_f16 v42, 0x38b4, v42 op_sel_hi:[0,1]
	v_pk_add_f16 v17, v13, v46 op_sel:[0,1] op_sel_hi:[1,0]
	v_pk_add_f16 v13, v13, v46 op_sel:[0,1] op_sel_hi:[1,0] neg_lo:[0,1] neg_hi:[0,1]
	v_pk_add_f16 v46, v30, v30 op_sel:[0,1] op_sel_hi:[1,0] neg_lo:[0,1] neg_hi:[0,1]
	v_add_f16_sdwa v27, v27, v31 dst_sel:DWORD dst_unused:UNUSED_PAD src0_sel:DWORD src1_sel:WORD_1
	v_pk_fma_f16 v36, 0x34f2, v12, v36 op_sel_hi:[0,1,1]
	v_mov_b32_e32 v11, 0x3b9c
	v_alignbit_b32 v55, v17, v13, 16
	v_alignbit_b32 v13, v13, v17, 16
	v_mul_u32_u24_e32 v17, 10, v4
	v_pk_add_f16 v46, v46, v54
	v_pk_mul_f16 v54, 0x34f23a79, v33
	v_pk_add_f16 v55, v55, v42 op_sel:[0,1] op_sel_hi:[1,0] neg_lo:[0,1] neg_hi:[0,1]
	v_pk_add_f16 v13, v42, v13 op_sel:[1,0] op_sel_hi:[0,1]
	v_pk_mul_f16 v56, 0x34f23a79, v35
	v_add_f16_e32 v27, v27, v31
	v_mul_f16_e32 v49, 0x3a79, v34
	v_mul_f16_sdwa v50, v36, v11 dst_sel:DWORD dst_unused:UNUSED_PAD src0_sel:WORD_1 src1_sel:DWORD
	v_mul_f16_e32 v11, 0x34f2, v36
	v_lshrrev_b32_e32 v12, 16, v39
	v_lshl_add_u32 v42, v17, 1, 0
	v_pk_fma_f16 v17, 0x3b9c38b4, v38, v54 neg_lo:[0,0,1] neg_hi:[0,0,1]
	v_pk_fma_f16 v54, 0x34f2, v46, v55 op_sel_hi:[0,1,1]
	v_pk_fma_f16 v55, 0x34f2, v46, v13 op_sel_hi:[0,1,1]
	v_pk_fma_f16 v56, 0x3b9c38b4, v32, v56
	v_cndmask_b32_e64 v57, 0, 0x640, s0
	v_add_f16_e32 v58, v27, v53
	v_fmac_f16_e32 v49, 0x38b4, v37
	v_fmac_f16_e32 v50, 0x34f2, v39
	v_fma_f16 v51, v12, 0x3b9c, -v11
	v_pack_b32_f16 v27, v27, v55
	v_pack_b32_f16 v60, v53, v56
	v_pk_add_f16 v59, v54, v17
	v_perm_b32 v61, v54, v55, 0x7060302
	v_perm_b32 v62, v17, v56, 0x7060302
	v_sub_f16_e32 v11, v40, v49
	v_sub_f16_e32 v10, v48, v50
	;; [unrolled: 1-line block ×4, first 2 shown]
	v_lshl_add_u32 v46, v57, 1, v42
	v_sub_f16_e32 v63, v54, v17
	v_pk_add_f16 v53, v55, v56
	v_pk_add_f16 v55, v27, v60 neg_lo:[0,1] neg_hi:[0,1]
	v_add_nc_u32_e32 v17, 0x64, v4
	v_cmp_gt_u32_e64 s0, 60, v4
	v_lshlrev_b32_e32 v27, 1, v57
	v_alignbit_b32 v54, v59, v59, 16
	v_pk_add_f16 v56, v61, v62 neg_lo:[0,1] neg_hi:[0,1]
	ds_write_b16 v46, v58
	ds_write_b128 v46, v[53:56] offset:2
	ds_write_b16 v46, v63 offset:18
	s_and_saveexec_b32 s1, s0
	s_cbranch_execz .LBB0_15
; %bb.14:
	v_pk_add_f16 v28, v28, v22
	v_add_f16_e32 v16, v16, v15
	v_add_f16_e32 v47, v47, v51
	v_add_f16_e32 v48, v48, v50
	v_mul_u32_u24_e32 v50, 20, v17
	v_pk_add_f16 v28, v28, v21
	v_add_f16_e32 v16, v16, v5
	v_add_f16_e32 v41, v41, v52
	v_pack_b32_f16 v47, v48, v47
	v_add3_u32 v50, 0, v50, v27
	v_pk_add_f16 v28, v28, v19
	v_add_f16_e32 v16, v16, v7
	v_pk_add_f16 v28, v18, v28
	v_add_f16_e32 v16, v14, v16
	v_perm_b32 v40, v40, v28, 0x5040100
	v_perm_b32 v49, v49, v16, 0x5040100
	v_sub_f16_e32 v16, v16, v28
	v_perm_b32 v28, v10, v11, 0x5040100
	v_pk_add_f16 v40, v40, v49
	v_pack_b32_f16 v16, v41, v16
	v_perm_b32 v41, v13, v12, 0x5040100
	ds_write2_b32 v50, v40, v47 offset1:1
	ds_write2_b32 v50, v16, v28 offset0:2 offset1:3
	ds_write_b32 v50, v41 offset:16
.LBB0_15:
	s_or_b32 exec_lo, exec_lo, s1
	v_pk_add_f16 v16, v2, v0
	v_add_f16_e32 v28, v2, v26
	v_pk_add_f16 v30, v30, v31 neg_lo:[0,1] neg_hi:[0,1]
	v_add_f16_e32 v29, v3, v29
	v_pk_add_f16 v31, v0, v0 op_sel:[0,1] op_sel_hi:[1,0] neg_lo:[0,1] neg_hi:[0,1]
	v_pk_fma_f16 v16, v16, -0.5, v26 op_sel_hi:[1,0,0]
	v_pk_add_f16 v26, v2, v2 op_sel:[0,1] op_sel_hi:[1,0] neg_lo:[0,1] neg_hi:[0,1]
	v_add_f16_sdwa v2, v28, v2 dst_sel:DWORD dst_unused:UNUSED_PAD src0_sel:DWORD src1_sel:WORD_1
	v_add_f16_e32 v41, v25, v20
	v_add_f16_sdwa v3, v29, v3 dst_sel:DWORD dst_unused:UNUSED_PAD src0_sel:DWORD src1_sel:WORD_1
	v_pk_fma_f16 v40, 0x3b9c, v30, v16 op_sel:[0,0,1] op_sel_hi:[0,1,0] neg_lo:[0,1,0] neg_hi:[0,1,0]
	v_pk_fma_f16 v16, 0x3b9c, v30, v16 op_sel:[0,0,1] op_sel_hi:[0,1,0]
	v_pk_mul_f16 v28, 0x38b4, v30 op_sel_hi:[0,1]
	v_add_f16_sdwa v2, v2, v0 dst_sel:DWORD dst_unused:UNUSED_PAD src0_sel:DWORD src1_sel:WORD_1
	v_pk_mul_f16 v35, 0xbb9cb8b4, v35
	v_pk_add_f16 v26, v26, v31
	v_bfi_b32 v29, 0xffff, v40, v16
	v_bfi_b32 v16, 0xffff, v16, v40
	v_add_f16_sdwa v3, v3, v1 dst_sel:DWORD dst_unused:UNUSED_PAD src0_sel:DWORD src1_sel:WORD_1
	v_add_f16_e32 v0, v2, v0
	v_mul_f16_e32 v2, 0.5, v41
	v_pk_add_f16 v29, v29, v28 op_sel:[0,1] op_sel_hi:[1,0] neg_lo:[0,1] neg_hi:[0,1]
	v_pk_fma_f16 v50, 0x34f23a79, v32, v35
	v_pk_add_f16 v16, v28, v16 op_sel:[1,0] op_sel_hi:[0,1]
	v_add_f16_e32 v1, v3, v1
	v_perm_b32 v2, v2, v14, 0x5040100
	v_pk_fma_f16 v28, 0x34f2, v26, v29 op_sel_hi:[0,1,1]
	v_add_f16_e32 v14, v24, v23
	v_sub_f16_e32 v52, v5, v7
	v_add_f16_e32 v54, v0, v1
	v_pack_b32_f16 v3, v1, v50
	v_pack_b32_f16 v0, v0, v28
	v_lshrrev_b32_e32 v1, 16, v15
	v_pk_add_f16 v7, v15, v2 neg_lo:[0,1] neg_hi:[0,1]
	v_pk_fma_f16 v16, 0x34f2, v26, v16 op_sel_hi:[0,1,1]
	v_sub_f16_e32 v5, v25, v24
	v_pk_add_f16 v51, v0, v3 neg_lo:[0,1] neg_hi:[0,1]
	v_mul_f16_e32 v3, 0x3b9c, v52
	v_fma_f16 v0, -0.5, v14, v1
	v_lshrrev_b32_e32 v14, 16, v7
	v_sub_f16_e32 v2, v20, v23
	v_sub_f16_e32 v29, v23, v20
	v_pack_b32_f16 v26, 0x38b4, v3
	v_pk_mul_f16 v3, 0x38b4, v7
	v_fmac_f16_e32 v14, 0xbb9c, v52
	v_add_f16_e32 v15, v5, v2
	v_sub_f16_e32 v5, v24, v25
	v_pk_add_f16 v30, v7, v26
	v_lshlrev_b32_e32 v31, 16, v3
	v_pack_b32_f16 v14, v14, v3
	v_pk_add_f16 v49, v28, v50
	v_add_f16_e32 v5, v5, v29
	v_perm_b32 v56, v16, v28, 0x7060302
	v_pk_add_f16 v29, v30, v31 neg_lo:[0,1] neg_hi:[0,1]
	v_pk_fma_f16 v14, v7, v26, v14
	v_lshlrev_b32_e32 v28, 1, v4
	v_mul_f16_e32 v5, 0x34f2, v5
	v_pk_mul_f16 v38, 0x34f23a79, v38
	v_fmamk_f16 v2, v7, 0xbb9c, v0
	v_bfi_b32 v14, 0xffff, v14, v29
	v_mul_i32_i24_e32 v29, 0xffffffee, v4
	v_mul_f16_e32 v3, 0xb8b4, v34
	v_pk_mul_f16 v26, 0x34f23b9c, v39
	v_fmac_f16_e32 v0, 0x3b9c, v7
	v_add3_u32 v7, 0, v27, v28
	v_pk_add_f16 v47, v5, v14 op_sel_hi:[0,1]
	v_add3_u32 v5, v42, v29, v27
	v_pk_fma_f16 v53, 0xbb9cb8b4, v33, v38 neg_lo:[0,0,1] neg_hi:[0,0,1]
	v_fmac_f16_e32 v3, 0x3a79, v37
	v_pk_fma_f16 v48, 0x34f2bb9c, v36, v26 op_sel:[0,0,1] op_sel_hi:[1,1,0] neg_lo:[0,0,1] neg_hi:[0,0,1]
	s_waitcnt lgkmcnt(0)
	s_barrier
	buffer_gl0_inv
	ds_read_u16 v28, v7
	ds_read_u16 v42, v5 offset:200
	ds_read_u16 v41, v5 offset:400
	;; [unrolled: 1-line block ×15, first 2 shown]
	v_fmac_f16_e32 v2, 0xb8b4, v52
	v_fmac_f16_e32 v0, 0x38b4, v52
	v_mul_f16_e32 v14, 0x3a79, v45
	v_perm_b32 v45, v53, v50, 0x7060302
	v_bfi_b32 v57, 0xffff, v3, v48
	v_fmac_f16_e32 v2, 0x34f2, v15
	v_fmac_f16_e32 v0, 0x34f2, v15
	v_fma_f16 v44, v44, 0xb8b4, -v14
	v_pk_add_f16 v55, v16, v53
	v_pk_add_f16 v52, v56, v45 neg_lo:[0,1] neg_hi:[0,1]
	v_bfi_b32 v50, 0xffff, v2, v47
	v_sub_f16_e32 v45, v16, v53
	v_sub_f16_e32 v15, v47, v48
	v_sub_f16_e32 v14, v0, v44
	s_waitcnt lgkmcnt(0)
	v_pk_add_f16 v16, v50, v57 neg_lo:[0,1] neg_hi:[0,1]
	v_alignbit_b32 v50, v55, v55, 16
	s_barrier
	buffer_gl0_inv
	ds_write_b16 v46, v54
	ds_write_b128 v46, v[49:52] offset:2
	ds_write_b16 v46, v45 offset:18
	s_and_saveexec_b32 s1, s0
	s_cbranch_execz .LBB0_17
; %bb.16:
	v_add_f16_e32 v1, v1, v25
	v_add_f16_sdwa v22, v43, v22 dst_sel:DWORD dst_unused:UNUSED_PAD src0_sel:DWORD src1_sel:WORD_1
	v_add_f16_e32 v2, v2, v3
	v_pk_add_f16 v3, v47, v48
	v_add_f16_e32 v0, v0, v44
	v_add_f16_e32 v1, v1, v24
	v_add_f16_sdwa v21, v22, v21 dst_sel:DWORD dst_unused:UNUSED_PAD src0_sel:DWORD src1_sel:WORD_1
	v_alignbit_b32 v3, v3, v3, 16
	v_add_f16_e32 v1, v1, v23
	v_add_f16_sdwa v19, v21, v19 dst_sel:DWORD dst_unused:UNUSED_PAD src0_sel:DWORD src1_sel:WORD_1
	v_mul_u32_u24_e32 v21, 10, v17
	v_add_f16_e32 v1, v20, v1
	v_add_f16_sdwa v18, v18, v19 dst_sel:DWORD dst_unused:UNUSED_PAD src0_sel:WORD_1 src1_sel:DWORD
	v_lshlrev_b32_e32 v19, 1, v21
	v_add_f16_e32 v20, v18, v1
	v_sub_f16_e32 v1, v1, v18
	v_add3_u32 v18, 0, v19, v27
	v_pack_b32_f16 v2, v20, v2
	v_pack_b32_f16 v0, v0, v1
	v_perm_b32 v1, v14, v15, 0x5040100
	ds_write2_b32 v18, v2, v3 offset1:1
	ds_write2_b32 v18, v0, v16 offset0:2 offset1:3
	ds_write_b32 v18, v1 offset:16
.LBB0_17:
	s_or_b32 exec_lo, exec_lo, s1
	v_and_b32_e32 v0, 0xff, v4
	v_mov_b32_e32 v1, 15
	s_waitcnt lgkmcnt(0)
	s_barrier
	buffer_gl0_inv
	v_mul_lo_u16 v0, 0xcd, v0
	v_lshrrev_b16 v22, 11, v0
	v_mul_lo_u16 v0, v22, 10
	v_sub_nc_u16 v23, v4, v0
	v_mul_u32_u24_sdwa v0, v23, v1 dst_sel:DWORD dst_unused:UNUSED_PAD src0_sel:BYTE_0 src1_sel:DWORD
	v_lshlrev_b32_e32 v24, 2, v0
	s_clause 0x3
	global_load_dwordx4 v[18:21], v24, s[8:9]
	global_load_dwordx4 v[0:3], v24, s[8:9] offset:16
	global_load_dwordx4 v[44:47], v24, s[8:9] offset:32
	global_load_dwordx3 v[48:50], v24, s[8:9] offset:48
	v_mov_b32_e32 v24, 0xa0
	v_mul_u32_u24_sdwa v22, v22, v24 dst_sel:DWORD dst_unused:UNUSED_PAD src0_sel:WORD_0 src1_sel:DWORD
	v_or_b32_sdwa v22, v22, v23 dst_sel:DWORD dst_unused:UNUSED_PAD src0_sel:DWORD src1_sel:BYTE_0
	ds_read_u16 v24, v7
	ds_read_u16 v23, v5 offset:200
	ds_read_u16 v51, v5 offset:400
	;; [unrolled: 1-line block ×15, first 2 shown]
	s_waitcnt vmcnt(0) lgkmcnt(0)
	s_barrier
	v_lshlrev_b32_e32 v22, 1, v22
	buffer_gl0_inv
	v_add3_u32 v43, 0, v22, v27
	v_mul_f16_sdwa v22, v23, v18 dst_sel:DWORD dst_unused:UNUSED_PAD src0_sel:DWORD src1_sel:WORD_1
	v_mul_f16_sdwa v64, v42, v18 dst_sel:DWORD dst_unused:UNUSED_PAD src0_sel:DWORD src1_sel:WORD_1
	;; [unrolled: 1-line block ×29, first 2 shown]
	v_fma_f16 v22, v42, v18, -v22
	v_fmac_f16_e32 v64, v23, v18
	v_fma_f16 v18, v41, v19, -v65
	v_fmac_f16_e32 v66, v51, v19
	;; [unrolled: 2-line block ×7, first 2 shown]
	v_fma_f16 v2, v36, v44, -v77
	v_fma_f16 v23, v34, v45, -v79
	;; [unrolled: 1-line block ×3, first 2 shown]
	v_fmac_f16_e32 v80, v58, v45
	v_fma_f16 v33, v33, v46, -v81
	v_fma_f16 v32, v32, v47, -v83
	v_fmac_f16_e32 v84, v60, v47
	v_fma_f16 v31, v31, v48, -v85
	v_fmac_f16_e32 v86, v61, v48
	;; [unrolled: 2-line block ×4, first 2 shown]
	v_fmac_f16_e32 v78, v57, v44
	v_fmac_f16_e32 v82, v59, v46
	v_sub_f16_e32 v34, v28, v34
	v_sub_f16_e32 v29, v20, v32
	;; [unrolled: 1-line block ×15, first 2 shown]
	v_fma_f16 v42, v28, 2.0, -v34
	v_fma_f16 v20, v20, 2.0, -v29
	;; [unrolled: 1-line block ×10, first 2 shown]
	v_sub_f16_e32 v51, v34, v41
	v_sub_f16_e32 v52, v23, v36
	v_add_f16_e32 v53, v32, v30
	v_sub_f16_e32 v36, v2, v38
	v_sub_f16_e32 v38, v33, v40
	v_fma_f16 v46, v66, 2.0, -v32
	v_fma_f16 v44, v64, 2.0, -v37
	;; [unrolled: 1-line block ×4, first 2 shown]
	v_add_f16_e32 v31, v37, v31
	v_add_f16_e32 v35, v39, v35
	v_sub_f16_e32 v20, v42, v20
	v_fma_f16 v34, v34, 2.0, -v51
	v_sub_f16_e32 v1, v18, v0
	v_fma_f16 v54, v23, 2.0, -v52
	v_fma_f16 v56, v32, 2.0, -v53
	v_sub_f16_e32 v21, v22, v21
	v_fma_f16 v32, v2, 2.0, -v36
	v_sub_f16_e32 v40, v19, v48
	;; [unrolled: 2-line block ×3, first 2 shown]
	v_sub_f16_e32 v23, v44, v45
	v_sub_f16_e32 v45, v47, v50
	v_fmamk_f16 v55, v52, 0x39a8, v51
	v_fmamk_f16 v0, v38, 0x39a8, v36
	v_fma_f16 v37, v37, 2.0, -v31
	v_fma_f16 v39, v39, 2.0, -v35
	v_fmamk_f16 v28, v35, 0x39a8, v31
	v_fma_f16 v48, v42, 2.0, -v20
	v_fma_f16 v18, v18, 2.0, -v1
	;; [unrolled: 1-line block ×4, first 2 shown]
	v_fmamk_f16 v57, v54, 0xb9a8, v34
	v_fmamk_f16 v2, v33, 0xb9a8, v32
	v_sub_f16_e32 v58, v20, v49
	v_sub_f16_e32 v60, v21, v45
	v_fma_f16 v50, v44, 2.0, -v23
	v_fma_f16 v42, v47, 2.0, -v45
	v_fmac_f16_e32 v55, 0xb9a8, v53
	v_fmac_f16_e32 v0, 0xb9a8, v35
	v_fmamk_f16 v30, v39, 0xb9a8, v37
	v_fmac_f16_e32 v28, 0x39a8, v38
	v_sub_f16_e32 v35, v48, v18
	v_fmac_f16_e32 v57, 0xb9a8, v56
	v_sub_f16_e32 v44, v22, v19
	v_fmac_f16_e32 v2, 0xb9a8, v39
	v_add_f16_e32 v61, v23, v40
	v_fma_f16 v38, v20, 2.0, -v58
	v_fma_f16 v62, v21, 2.0, -v60
	;; [unrolled: 1-line block ×3, first 2 shown]
	v_sub_f16_e32 v51, v50, v42
	v_fma_f16 v42, v36, 2.0, -v0
	v_fmac_f16_e32 v30, 0x39a8, v33
	v_fma_f16 v47, v31, 2.0, -v28
	v_fma_f16 v31, v48, 2.0, -v35
	;; [unrolled: 1-line block ×5, first 2 shown]
	v_fmamk_f16 v19, v60, 0x39a8, v58
	v_fma_f16 v63, v23, 2.0, -v61
	v_fmamk_f16 v20, v0, 0x3b64, v55
	v_fmamk_f16 v18, v62, 0xb9a8, v38
	;; [unrolled: 1-line block ×4, first 2 shown]
	v_fma_f16 v48, v37, 2.0, -v30
	v_sub_f16_e32 v22, v35, v51
	v_sub_f16_e32 v32, v31, v34
	v_fmamk_f16 v34, v45, 0xbb64, v33
	v_fmac_f16_e32 v19, 0xb9a8, v61
	v_fmac_f16_e32 v20, 0xb61f, v28
	;; [unrolled: 1-line block ×5, first 2 shown]
	v_fma_f16 v35, v35, 2.0, -v22
	v_fmac_f16_e32 v34, 0xb61f, v48
	v_fma_f16 v36, v58, 2.0, -v19
	v_fma_f16 v31, v31, 2.0, -v32
	;; [unrolled: 1-line block ×6, first 2 shown]
	ds_write_b16 v43, v22 offset:240
	ds_write_b16 v43, v19 offset:280
	;; [unrolled: 1-line block ×10, first 2 shown]
	v_fma_f16 v32, v33, 2.0, -v34
	ds_write_b16 v43, v31
	ds_write_b16 v43, v38 offset:40
	ds_write_b16 v43, v39 offset:60
	;; [unrolled: 1-line block ×5, first 2 shown]
	s_waitcnt lgkmcnt(0)
	s_barrier
	buffer_gl0_inv
	ds_read_u16 v31, v7
	ds_read_u16 v32, v5 offset:320
	ds_read_u16 v34, v5 offset:640
	;; [unrolled: 1-line block ×9, first 2 shown]
	v_mul_f16_e32 v55, 0x39a8, v54
	v_mul_f16_e32 v58, 0x39a8, v56
	;; [unrolled: 1-line block ×8, first 2 shown]
	s_and_saveexec_b32 s1, s0
	s_cbranch_execz .LBB0_19
; %bb.18:
	ds_read_u16 v18, v5 offset:200
	ds_read_u16 v21, v5 offset:520
	;; [unrolled: 1-line block ×10, first 2 shown]
.LBB0_19:
	s_or_b32 exec_lo, exec_lo, s1
	v_mul_f16_sdwa v26, v26, v3 dst_sel:DWORD dst_unused:UNUSED_PAD src0_sel:DWORD src1_sel:WORD_1
	s_waitcnt lgkmcnt(0)
	s_barrier
	buffer_gl0_inv
	v_fmac_f16_e32 v26, v25, v3
	v_fma_f16 v25, v27, 2.0, -v41
	v_fma_f16 v27, v46, 2.0, -v49
	;; [unrolled: 1-line block ×3, first 2 shown]
	v_sub_f16_e32 v3, v24, v26
	v_fma_f16 v24, v24, 2.0, -v3
	v_add_f16_e32 v26, v3, v29
	v_sub_f16_e32 v25, v24, v25
	v_fma_f16 v3, v3, 2.0, -v26
	v_add_f16_e32 v29, v26, v59
	v_fma_f16 v24, v24, 2.0, -v25
	v_sub_f16_e32 v46, v3, v58
	v_add_f16_e32 v1, v25, v1
	v_add_f16_e32 v49, v57, v29
	v_sub_f16_e32 v50, v24, v27
	v_add_f16_e32 v46, v55, v46
	v_fma_f16 v51, v25, 2.0, -v1
	v_fma_f16 v55, v26, 2.0, -v49
	v_add_f16_e32 v29, v1, v56
	v_fmamk_f16 v25, v28, 0x3b64, v49
	v_fma_f16 v56, v24, 2.0, -v50
	v_fma_f16 v3, v3, 2.0, -v46
	v_sub_f16_e32 v24, v51, v54
	v_fmamk_f16 v26, v47, 0xb61f, v55
	v_fmamk_f16 v28, v30, 0x361f, v46
	v_add_f16_e32 v27, v50, v44
	v_fmac_f16_e32 v25, 0x361f, v0
	v_sub_f16_e32 v0, v56, v41
	v_fmamk_f16 v30, v48, 0xbb64, v3
	v_add_f16_e32 v29, v53, v29
	v_add_f16_e32 v24, v52, v24
	v_fmac_f16_e32 v26, 0x3b64, v42
	v_fmac_f16_e32 v28, 0x3b64, v2
	v_fma_f16 v41, v50, 2.0, -v27
	v_fma_f16 v42, v56, 2.0, -v0
	v_fmac_f16_e32 v30, 0x361f, v45
	v_fma_f16 v1, v1, 2.0, -v29
	v_fma_f16 v44, v51, 2.0, -v24
	;; [unrolled: 1-line block ×5, first 2 shown]
	ds_write_b16 v43, v41 offset:80
	ds_write_b16 v43, v1 offset:120
	ds_write_b16 v43, v2 offset:140
	ds_write_b16 v43, v0 offset:160
	v_fma_f16 v0, v3, 2.0, -v30
	ds_write_b16 v43, v42
	ds_write_b16 v43, v44 offset:40
	ds_write_b16 v43, v45 offset:60
	;; [unrolled: 1-line block ×11, first 2 shown]
	s_waitcnt lgkmcnt(0)
	s_barrier
	buffer_gl0_inv
	ds_read_u16 v41, v7
	ds_read_u16 v42, v5 offset:320
	ds_read_u16 v47, v5 offset:640
	;; [unrolled: 1-line block ×9, first 2 shown]
	v_lshrrev_b32_e32 v30, 16, v16
	s_and_saveexec_b32 s1, s0
	s_cbranch_execz .LBB0_21
; %bb.20:
	ds_read_u16 v24, v5 offset:200
	ds_read_u16 v26, v5 offset:520
	;; [unrolled: 1-line block ×10, first 2 shown]
.LBB0_21:
	s_or_b32 exec_lo, exec_lo, s1
	s_and_saveexec_b32 s1, vcc_lo
	s_cbranch_execz .LBB0_24
; %bb.22:
	v_mul_u32_u24_e32 v0, 9, v4
	v_mov_b32_e32 v5, 0
	v_add_co_u32 v3, vcc_lo, s2, v8
	v_add_co_ci_u32_e32 v9, vcc_lo, s3, v9, vcc_lo
	v_lshlrev_b32_e32 v0, 2, v0
	v_mov_b32_e32 v7, v5
	s_clause 0x2
	global_load_dwordx4 v[51:54], v0, s[8:9] offset:600
	global_load_dwordx4 v[55:58], v0, s[8:9] offset:616
	global_load_dword v61, v0, s[8:9] offset:632
	v_lshlrev_b64 v[0:1], 2, v[4:5]
	v_lshlrev_b64 v[7:8], 2, v[6:7]
	v_add_co_u32 v0, vcc_lo, v3, v0
	v_add_co_ci_u32_e32 v1, vcc_lo, v9, v1, vcc_lo
	v_add_co_u32 v59, s2, v3, v7
	v_add_co_u32 v6, vcc_lo, 0x800, v0
	v_add_co_ci_u32_e32 v7, vcc_lo, 0, v1, vcc_lo
	v_add_co_ci_u32_e64 v60, vcc_lo, v9, v8, s2
	v_add_co_u32 v2, s1, 0x1000, v0
	v_add_co_ci_u32_e64 v3, vcc_lo, 0, v1, s1
	s_waitcnt vmcnt(2)
	v_mul_f16_sdwa v8, v34, v52 dst_sel:DWORD dst_unused:UNUSED_PAD src0_sel:DWORD src1_sel:WORD_1
	v_mul_f16_sdwa v9, v38, v54 dst_sel:DWORD dst_unused:UNUSED_PAD src0_sel:DWORD src1_sel:WORD_1
	s_waitcnt vmcnt(1)
	v_mul_f16_sdwa v62, v40, v58 dst_sel:DWORD dst_unused:UNUSED_PAD src0_sel:DWORD src1_sel:WORD_1
	v_mul_f16_sdwa v63, v39, v56 dst_sel:DWORD dst_unused:UNUSED_PAD src0_sel:DWORD src1_sel:WORD_1
	s_waitcnt lgkmcnt(6)
	v_mul_f16_sdwa v68, v43, v53 dst_sel:DWORD dst_unused:UNUSED_PAD src0_sel:DWORD src1_sel:WORD_1
	s_waitcnt lgkmcnt(4)
	v_mul_f16_sdwa v69, v44, v55 dst_sel:DWORD dst_unused:UNUSED_PAD src0_sel:DWORD src1_sel:WORD_1
	s_waitcnt vmcnt(0) lgkmcnt(0)
	v_mul_f16_sdwa v70, v46, v61 dst_sel:DWORD dst_unused:UNUSED_PAD src0_sel:DWORD src1_sel:WORD_1
	v_mul_f16_sdwa v71, v45, v57 dst_sel:DWORD dst_unused:UNUSED_PAD src0_sel:DWORD src1_sel:WORD_1
	;; [unrolled: 1-line block ×12, first 2 shown]
	v_fmac_f16_e32 v8, v47, v52
	v_fmac_f16_e32 v9, v48, v54
	;; [unrolled: 1-line block ×4, first 2 shown]
	v_fma_f16 v33, v33, v53, -v68
	v_fma_f16 v35, v35, v55, -v69
	;; [unrolled: 1-line block ×4, first 2 shown]
	v_fmac_f16_e32 v75, v44, v55
	v_fmac_f16_e32 v76, v45, v57
	;; [unrolled: 1-line block ×4, first 2 shown]
	v_fma_f16 v38, v38, v54, -v64
	v_fma_f16 v39, v39, v56, -v65
	;; [unrolled: 1-line block ×5, first 2 shown]
	v_fmac_f16_e32 v77, v42, v51
	v_sub_f16_e32 v42, v8, v9
	v_sub_f16_e32 v43, v62, v63
	v_add_f16_e32 v46, v9, v63
	v_sub_f16_e32 v47, v33, v35
	v_sub_f16_e32 v48, v37, v36
	v_add_f16_e32 v49, v35, v36
	v_add_f16_e32 v56, v75, v76
	;; [unrolled: 1-line block ×3, first 2 shown]
	v_sub_f16_e32 v52, v73, v75
	v_sub_f16_e32 v53, v74, v76
	;; [unrolled: 1-line block ×4, first 2 shown]
	v_add_f16_e32 v69, v73, v74
	v_sub_f16_e32 v45, v34, v40
	v_sub_f16_e32 v50, v73, v74
	v_sub_f16_e32 v51, v75, v76
	v_sub_f16_e32 v55, v33, v37
	v_sub_f16_e32 v64, v35, v33
	v_sub_f16_e32 v65, v36, v37
	v_sub_f16_e32 v67, v75, v73
	v_sub_f16_e32 v68, v76, v74
	v_add_f16_e32 v70, v41, v8
	v_add_f16_e32 v71, v73, v77
	v_sub_f16_e32 v72, v34, v38
	v_add_f16_e32 v78, v38, v39
	v_sub_f16_e32 v80, v38, v34
	v_add_f16_e32 v82, v34, v40
	v_add_f16_e32 v34, v31, v34
	;; [unrolled: 1-line block ×4, first 2 shown]
	v_fma_f16 v43, -0.5, v46, v41
	v_add_f16_e32 v46, v47, v48
	v_fma_f16 v47, -0.5, v49, v32
	v_fma_f16 v49, -0.5, v56, v77
	v_fma_f16 v32, -0.5, v66, v32
	v_sub_f16_e32 v54, v35, v36
	v_add_f16_e32 v48, v52, v53
	v_add_f16_e32 v52, v57, v58
	v_fma_f16 v57, -0.5, v69, v77
	v_sub_f16_e32 v44, v38, v39
	v_add_f16_e32 v61, v8, v62
	v_sub_f16_e32 v79, v9, v63
	v_add_f16_e32 v53, v64, v65
	v_add_f16_e32 v56, v67, v68
	;; [unrolled: 1-line block ×4, first 2 shown]
	v_fma_f16 v64, -0.5, v78, v31
	v_fma_f16 v31, -0.5, v82, v31
	v_add_f16_e32 v34, v34, v38
	v_add_f16_e32 v33, v35, v33
	v_fmamk_f16 v38, v50, 0xbb9c, v47
	v_fmamk_f16 v66, v55, 0x3b9c, v49
	;; [unrolled: 1-line block ×3, first 2 shown]
	v_fmac_f16_e32 v32, 0xbb9c, v51
	v_fmac_f16_e32 v49, 0xbb9c, v55
	;; [unrolled: 1-line block ×3, first 2 shown]
	v_fmamk_f16 v69, v54, 0xbb9c, v57
	v_fmac_f16_e32 v57, 0x3b9c, v54
	v_sub_f16_e32 v8, v8, v62
	v_fma_f16 v41, -0.5, v61, v41
	v_add_f16_e32 v9, v9, v63
	v_add_f16_e32 v58, v76, v58
	v_fmamk_f16 v70, v79, 0x3b9c, v31
	v_fmac_f16_e32 v31, 0xbb9c, v79
	v_add_f16_e32 v34, v34, v39
	v_add_f16_e32 v33, v36, v33
	v_fmac_f16_e32 v66, 0x38b4, v54
	v_fmac_f16_e32 v32, 0x38b4, v50
	;; [unrolled: 1-line block ×7, first 2 shown]
	v_fmamk_f16 v35, v45, 0x3b9c, v43
	v_fmac_f16_e32 v43, 0xbb9c, v45
	v_fmac_f16_e32 v38, 0xb8b4, v51
	v_sub_f16_e32 v73, v40, v39
	v_fmamk_f16 v67, v44, 0xbb9c, v41
	v_fmac_f16_e32 v41, 0x3b9c, v44
	v_fmamk_f16 v63, v8, 0xbb9c, v64
	v_fmac_f16_e32 v64, 0x3b9c, v8
	v_add_f16_e32 v9, v62, v9
	v_add_f16_e32 v36, v74, v58
	v_fmac_f16_e32 v70, 0xb8b4, v8
	v_fmac_f16_e32 v31, 0x38b4, v8
	v_add_f16_e32 v8, v40, v34
	v_add_f16_e32 v33, v37, v33
	v_fmac_f16_e32 v66, 0x34f2, v48
	v_fmac_f16_e32 v32, 0x34f2, v53
	;; [unrolled: 1-line block ×4, first 2 shown]
	v_sub_f16_e32 v81, v39, v40
	v_fmac_f16_e32 v57, 0x34f2, v56
	v_fmac_f16_e32 v68, 0x34f2, v53
	;; [unrolled: 1-line block ×6, first 2 shown]
	v_add_f16_e32 v61, v72, v73
	v_fmac_f16_e32 v41, 0xb8b4, v45
	v_fmac_f16_e32 v64, 0x38b4, v79
	v_sub_f16_e32 v34, v9, v36
	v_sub_f16_e32 v37, v8, v33
	v_add_f16_e32 v9, v9, v36
	v_add_f16_e32 v8, v8, v33
	v_mul_f16_e32 v33, 0x3a79, v66
	v_mul_f16_e32 v39, 0xbb9c, v32
	;; [unrolled: 1-line block ×4, first 2 shown]
	v_add_f16_e32 v65, v80, v81
	v_fmac_f16_e32 v67, 0x38b4, v45
	v_mul_f16_e32 v45, 0x3b9c, v57
	v_mul_f16_e32 v36, 0x34f2, v69
	;; [unrolled: 1-line block ×3, first 2 shown]
	v_fmac_f16_e32 v63, 0xb8b4, v79
	v_fmac_f16_e32 v35, 0x34f2, v42
	;; [unrolled: 1-line block ×3, first 2 shown]
	v_mul_f16_e32 v42, 0x3a79, v38
	v_fmac_f16_e32 v41, 0x34f2, v52
	v_fmac_f16_e32 v64, 0x34f2, v61
	v_pack_b32_f16 v8, v8, v9
	v_fma_f16 v33, v38, 0xb8b4, -v33
	v_fmac_f16_e32 v39, 0x34f2, v57
	v_fmac_f16_e32 v40, 0x3a79, v49
	;; [unrolled: 1-line block ×4, first 2 shown]
	v_pack_b32_f16 v9, v37, v34
	v_fmac_f16_e32 v45, 0x34f2, v32
	v_fmac_f16_e32 v67, 0x34f2, v52
	;; [unrolled: 1-line block ×3, first 2 shown]
	v_fma_f16 v34, v68, 0xbb9c, -v36
	v_fma_f16 v37, v69, 0x3b9c, -v44
	v_fmac_f16_e32 v63, 0x34f2, v61
	v_fma_f16 v36, v66, 0x38b4, -v42
	global_store_dword v[0:1], v8, off
	global_store_dword v[6:7], v9, off offset:1152
	v_sub_f16_e32 v8, v35, v33
	v_sub_f16_e32 v32, v41, v39
	;; [unrolled: 1-line block ×3, first 2 shown]
	v_add_f16_e32 v33, v35, v33
	v_add_f16_e32 v35, v41, v39
	v_add_f16_e32 v39, v43, v40
	v_add_f16_e32 v40, v64, v46
	v_sub_f16_e32 v47, v31, v45
	v_add_f16_e32 v31, v31, v45
	v_sub_f16_e32 v9, v67, v34
	v_sub_f16_e32 v44, v70, v37
	v_add_f16_e32 v34, v67, v34
	v_add_f16_e32 v37, v70, v37
	v_sub_f16_e32 v42, v63, v36
	v_add_f16_e32 v36, v63, v36
	v_sub_f16_e32 v41, v64, v46
	v_pack_b32_f16 v39, v40, v39
	v_pack_b32_f16 v31, v31, v35
	v_pack_b32_f16 v34, v37, v34
	v_pack_b32_f16 v33, v36, v33
	v_pack_b32_f16 v35, v41, v38
	v_pack_b32_f16 v32, v47, v32
	v_pack_b32_f16 v9, v44, v9
	v_pack_b32_f16 v8, v42, v8
	global_store_dword v[0:1], v39, off offset:640
	global_store_dword v[0:1], v31, off offset:1280
	;; [unrolled: 1-line block ×6, first 2 shown]
	global_store_dword v[59:60], v9, off
	global_store_dword v[2:3], v8, off offset:1664
	s_and_b32 exec_lo, exec_lo, s0
	s_cbranch_execz .LBB0_24
; %bb.23:
	v_subrev_nc_u32_e32 v4, 60, v4
	v_cndmask_b32_e64 v4, v4, v17, s0
	v_mul_i32_i24_e32 v4, 9, v4
	v_lshlrev_b64 v[4:5], 2, v[4:5]
	v_add_co_u32 v4, vcc_lo, s8, v4
	v_add_co_ci_u32_e32 v5, vcc_lo, s9, v5, vcc_lo
	s_clause 0x2
	global_load_dwordx4 v[31:34], v[4:5], off offset:600
	global_load_dwordx4 v[35:38], v[4:5], off offset:616
	global_load_dword v8, v[4:5], off offset:632
	v_add_co_u32 v4, vcc_lo, 0x1800, v0
	v_add_co_ci_u32_e32 v5, vcc_lo, 0, v1, vcc_lo
	s_waitcnt vmcnt(2)
	v_mul_f16_sdwa v9, v26, v31 dst_sel:DWORD dst_unused:UNUSED_PAD src0_sel:DWORD src1_sel:WORD_1
	v_mul_f16_sdwa v39, v27, v32 dst_sel:DWORD dst_unused:UNUSED_PAD src0_sel:DWORD src1_sel:WORD_1
	;; [unrolled: 1-line block ×6, first 2 shown]
	s_waitcnt vmcnt(1)
	v_mul_f16_sdwa v45, v25, v35 dst_sel:DWORD dst_unused:UNUSED_PAD src0_sel:DWORD src1_sel:WORD_1
	v_mul_f16_sdwa v46, v20, v35 dst_sel:DWORD dst_unused:UNUSED_PAD src0_sel:DWORD src1_sel:WORD_1
	v_mul_f16_sdwa v47, v16, v36 dst_sel:DWORD dst_unused:UNUSED_PAD src0_sel:DWORD src1_sel:WORD_1
	v_mul_f16_sdwa v48, v11, v36 dst_sel:DWORD dst_unused:UNUSED_PAD src0_sel:DWORD src1_sel:WORD_1
	v_mul_f16_sdwa v49, v30, v37 dst_sel:DWORD dst_unused:UNUSED_PAD src0_sel:DWORD src1_sel:WORD_1
	v_mul_f16_sdwa v50, v10, v37 dst_sel:DWORD dst_unused:UNUSED_PAD src0_sel:DWORD src1_sel:WORD_1
	v_mul_f16_sdwa v51, v15, v38 dst_sel:DWORD dst_unused:UNUSED_PAD src0_sel:DWORD src1_sel:WORD_1
	v_mul_f16_sdwa v52, v12, v38 dst_sel:DWORD dst_unused:UNUSED_PAD src0_sel:DWORD src1_sel:WORD_1
	v_mul_f16_sdwa v42, v23, v33 dst_sel:DWORD dst_unused:UNUSED_PAD src0_sel:DWORD src1_sel:WORD_1
	s_waitcnt vmcnt(0)
	v_mul_f16_sdwa v53, v14, v8 dst_sel:DWORD dst_unused:UNUSED_PAD src0_sel:DWORD src1_sel:WORD_1
	v_mul_f16_sdwa v54, v13, v8 dst_sel:DWORD dst_unused:UNUSED_PAD src0_sel:DWORD src1_sel:WORD_1
	;; [unrolled: 1-line block ×3, first 2 shown]
	v_fma_f16 v9, v21, v31, -v9
	v_fma_f16 v21, v22, v32, -v39
	v_fmac_f16_e32 v40, v27, v32
	v_fma_f16 v22, v23, v33, -v41
	v_fma_f16 v19, v19, v34, -v43
	v_fmac_f16_e32 v44, v29, v34
	v_fma_f16 v20, v20, v35, -v45
	v_fmac_f16_e32 v46, v25, v35
	;; [unrolled: 2-line block ×5, first 2 shown]
	v_fmac_f16_e32 v42, v28, v33
	v_fma_f16 v13, v13, v8, -v53
	v_fmac_f16_e32 v54, v14, v8
	v_fmac_f16_e32 v17, v26, v31
	v_add_f16_e32 v8, v18, v21
	v_add_f16_e32 v14, v19, v11
	v_sub_f16_e32 v23, v21, v19
	v_sub_f16_e32 v25, v12, v11
	v_add_f16_e32 v26, v21, v12
	v_add_f16_e32 v29, v24, v40
	;; [unrolled: 1-line block ×9, first 2 shown]
	v_sub_f16_e32 v27, v19, v21
	v_sub_f16_e32 v28, v11, v12
	;; [unrolled: 1-line block ×9, first 2 shown]
	v_add_f16_e32 v51, v17, v42
	v_sub_f16_e32 v22, v22, v13
	v_sub_f16_e32 v55, v20, v10
	v_add_f16_e32 v8, v8, v19
	v_fma_f16 v14, -0.5, v14, v18
	v_add_f16_e32 v19, v23, v25
	v_fmac_f16_e32 v18, -0.5, v26
	v_add_f16_e32 v25, v29, v44
	v_fma_f16 v26, -0.5, v30, v24
	v_fmac_f16_e32 v24, -0.5, v34
	v_add_f16_e32 v20, v37, v20
	v_fma_f16 v29, -0.5, v38, v9
	v_fma_f16 v34, -0.5, v53, v17
	v_sub_f16_e32 v15, v40, v52
	v_sub_f16_e32 v35, v44, v40
	;; [unrolled: 1-line block ×7, first 2 shown]
	v_fmac_f16_e32 v9, -0.5, v45
	v_fmac_f16_e32 v17, -0.5, v58
	v_sub_f16_e32 v49, v10, v13
	v_sub_f16_e32 v57, v54, v50
	v_add_f16_e32 v23, v27, v28
	v_add_f16_e32 v27, v32, v33
	v_add_f16_e32 v30, v41, v43
	v_add_f16_e32 v33, v51, v46
	v_add_f16_e32 v10, v20, v10
	v_fmamk_f16 v20, v39, 0x3b9c, v29
	v_fmamk_f16 v43, v22, 0xbb9c, v34
	v_sub_f16_e32 v16, v44, v48
	v_add_f16_e32 v28, v35, v36
	v_add_f16_e32 v36, v42, v59
	v_fmamk_f16 v42, v40, 0xbb9c, v9
	v_fmamk_f16 v44, v55, 0x3b9c, v17
	v_fmac_f16_e32 v9, 0x3b9c, v40
	v_fmac_f16_e32 v17, 0xbb9c, v55
	v_sub_f16_e32 v21, v21, v12
	v_fmac_f16_e32 v29, 0xbb9c, v39
	v_fmac_f16_e32 v34, 0x3b9c, v22
	v_add_f16_e32 v35, v56, v57
	v_add_f16_e32 v8, v8, v11
	;; [unrolled: 1-line block ×4, first 2 shown]
	v_fmac_f16_e32 v20, 0x38b4, v40
	v_fmac_f16_e32 v43, 0xb8b4, v55
	v_add_f16_e32 v32, v47, v49
	v_fmamk_f16 v37, v16, 0xbb9c, v18
	v_fmac_f16_e32 v18, 0x3b9c, v16
	v_fmac_f16_e32 v42, 0x38b4, v39
	v_fmac_f16_e32 v44, 0xb8b4, v22
	v_fmamk_f16 v11, v15, 0x3b9c, v14
	v_fmac_f16_e32 v14, 0xbb9c, v15
	v_fmac_f16_e32 v9, 0xb8b4, v39
	v_fmac_f16_e32 v17, 0x38b4, v22
	;; [unrolled: 4-line block ×3, first 2 shown]
	v_add_f16_e32 v8, v8, v12
	v_add_f16_e32 v12, v25, v52
	;; [unrolled: 1-line block ×4, first 2 shown]
	v_fmac_f16_e32 v20, 0x34f2, v30
	v_fmac_f16_e32 v43, 0x34f2, v35
	v_fmamk_f16 v41, v31, 0x3b9c, v24
	v_fmac_f16_e32 v37, 0x38b4, v15
	v_fmac_f16_e32 v18, 0xb8b4, v15
	v_fmac_f16_e32 v42, 0x34f2, v32
	v_fmac_f16_e32 v44, 0x34f2, v36
	v_fmac_f16_e32 v24, 0xbb9c, v31
	v_fmac_f16_e32 v11, 0x38b4, v16
	v_fmac_f16_e32 v14, 0xb8b4, v16
	v_fmac_f16_e32 v9, 0x34f2, v32
	v_fmac_f16_e32 v17, 0x34f2, v36
	v_fmac_f16_e32 v38, 0xb8b4, v31
	v_fmac_f16_e32 v26, 0x38b4, v31
	v_fmac_f16_e32 v29, 0x34f2, v30
	v_fmac_f16_e32 v34, 0x34f2, v35
	v_add_f16_e32 v15, v8, v10
	v_add_f16_e32 v16, v12, v13
	v_sub_f16_e32 v8, v8, v10
	v_sub_f16_e32 v10, v12, v13
	v_mul_f16_e32 v12, 0x38b4, v43
	v_mul_f16_e32 v22, 0xb8b4, v20
	v_fmac_f16_e32 v41, 0xb8b4, v21
	v_fmac_f16_e32 v37, 0x34f2, v23
	v_fmac_f16_e32 v18, 0x34f2, v23
	v_mul_f16_e32 v13, 0x3b9c, v44
	v_mul_f16_e32 v23, 0xbb9c, v42
	v_fmac_f16_e32 v24, 0x38b4, v21
	v_fmac_f16_e32 v11, 0x34f2, v19
	v_fmac_f16_e32 v14, 0x34f2, v19
	v_mul_f16_e32 v19, 0x34f2, v9
	v_mul_f16_e32 v25, 0x34f2, v17
	v_fmac_f16_e32 v38, 0x34f2, v27
	v_fmac_f16_e32 v26, 0x34f2, v27
	v_mul_f16_e32 v21, 0x3a79, v29
	v_mul_f16_e32 v27, 0x3a79, v34
	v_pack_b32_f16 v15, v15, v16
	v_fmac_f16_e32 v12, 0x3a79, v20
	v_fmac_f16_e32 v22, 0x3a79, v43
	;; [unrolled: 1-line block ×3, first 2 shown]
	v_pack_b32_f16 v8, v8, v10
	v_fmac_f16_e32 v13, 0x34f2, v42
	v_fmac_f16_e32 v23, 0x34f2, v44
	;; [unrolled: 1-line block ×3, first 2 shown]
	v_fma_f16 v10, v17, 0x3b9c, -v19
	v_fma_f16 v9, v9, 0xbb9c, -v25
	;; [unrolled: 1-line block ×4, first 2 shown]
	global_store_dword v[0:1], v15, off offset:400
	global_store_dword v[6:7], v8, off offset:1552
	v_add_f16_e32 v8, v11, v12
	v_add_f16_e32 v21, v38, v22
	;; [unrolled: 1-line block ×8, first 2 shown]
	v_sub_f16_e32 v11, v11, v12
	v_sub_f16_e32 v12, v37, v13
	;; [unrolled: 1-line block ×8, first 2 shown]
	v_pack_b32_f16 v8, v8, v21
	v_pack_b32_f16 v15, v15, v25
	;; [unrolled: 1-line block ×8, first 2 shown]
	global_store_dword v[0:1], v8, off offset:1040
	global_store_dword v[0:1], v15, off offset:1680
	;; [unrolled: 1-line block ×8, first 2 shown]
.LBB0_24:
	s_endpgm
	.section	.rodata,"a",@progbits
	.p2align	6, 0x0
	.amdhsa_kernel fft_rtc_fwd_len1600_factors_10_16_10_wgs_200_tpt_100_halfLds_half_ip_CI_unitstride_sbrr_dirReg
		.amdhsa_group_segment_fixed_size 0
		.amdhsa_private_segment_fixed_size 0
		.amdhsa_kernarg_size 88
		.amdhsa_user_sgpr_count 6
		.amdhsa_user_sgpr_private_segment_buffer 1
		.amdhsa_user_sgpr_dispatch_ptr 0
		.amdhsa_user_sgpr_queue_ptr 0
		.amdhsa_user_sgpr_kernarg_segment_ptr 1
		.amdhsa_user_sgpr_dispatch_id 0
		.amdhsa_user_sgpr_flat_scratch_init 0
		.amdhsa_user_sgpr_private_segment_size 0
		.amdhsa_wavefront_size32 1
		.amdhsa_uses_dynamic_stack 0
		.amdhsa_system_sgpr_private_segment_wavefront_offset 0
		.amdhsa_system_sgpr_workgroup_id_x 1
		.amdhsa_system_sgpr_workgroup_id_y 0
		.amdhsa_system_sgpr_workgroup_id_z 0
		.amdhsa_system_sgpr_workgroup_info 0
		.amdhsa_system_vgpr_workitem_id 0
		.amdhsa_next_free_vgpr 91
		.amdhsa_next_free_sgpr 21
		.amdhsa_reserve_vcc 1
		.amdhsa_reserve_flat_scratch 0
		.amdhsa_float_round_mode_32 0
		.amdhsa_float_round_mode_16_64 0
		.amdhsa_float_denorm_mode_32 3
		.amdhsa_float_denorm_mode_16_64 3
		.amdhsa_dx10_clamp 1
		.amdhsa_ieee_mode 1
		.amdhsa_fp16_overflow 0
		.amdhsa_workgroup_processor_mode 1
		.amdhsa_memory_ordered 1
		.amdhsa_forward_progress 0
		.amdhsa_shared_vgpr_count 0
		.amdhsa_exception_fp_ieee_invalid_op 0
		.amdhsa_exception_fp_denorm_src 0
		.amdhsa_exception_fp_ieee_div_zero 0
		.amdhsa_exception_fp_ieee_overflow 0
		.amdhsa_exception_fp_ieee_underflow 0
		.amdhsa_exception_fp_ieee_inexact 0
		.amdhsa_exception_int_div_zero 0
	.end_amdhsa_kernel
	.text
.Lfunc_end0:
	.size	fft_rtc_fwd_len1600_factors_10_16_10_wgs_200_tpt_100_halfLds_half_ip_CI_unitstride_sbrr_dirReg, .Lfunc_end0-fft_rtc_fwd_len1600_factors_10_16_10_wgs_200_tpt_100_halfLds_half_ip_CI_unitstride_sbrr_dirReg
                                        ; -- End function
	.section	.AMDGPU.csdata,"",@progbits
; Kernel info:
; codeLenInByte = 9464
; NumSgprs: 23
; NumVgprs: 91
; ScratchSize: 0
; MemoryBound: 0
; FloatMode: 240
; IeeeMode: 1
; LDSByteSize: 0 bytes/workgroup (compile time only)
; SGPRBlocks: 2
; VGPRBlocks: 11
; NumSGPRsForWavesPerEU: 23
; NumVGPRsForWavesPerEU: 91
; Occupancy: 10
; WaveLimiterHint : 1
; COMPUTE_PGM_RSRC2:SCRATCH_EN: 0
; COMPUTE_PGM_RSRC2:USER_SGPR: 6
; COMPUTE_PGM_RSRC2:TRAP_HANDLER: 0
; COMPUTE_PGM_RSRC2:TGID_X_EN: 1
; COMPUTE_PGM_RSRC2:TGID_Y_EN: 0
; COMPUTE_PGM_RSRC2:TGID_Z_EN: 0
; COMPUTE_PGM_RSRC2:TIDIG_COMP_CNT: 0
	.text
	.p2alignl 6, 3214868480
	.fill 48, 4, 3214868480
	.type	__hip_cuid_148ad5c21d342a52,@object ; @__hip_cuid_148ad5c21d342a52
	.section	.bss,"aw",@nobits
	.globl	__hip_cuid_148ad5c21d342a52
__hip_cuid_148ad5c21d342a52:
	.byte	0                               ; 0x0
	.size	__hip_cuid_148ad5c21d342a52, 1

	.ident	"AMD clang version 19.0.0git (https://github.com/RadeonOpenCompute/llvm-project roc-6.4.0 25133 c7fe45cf4b819c5991fe208aaa96edf142730f1d)"
	.section	".note.GNU-stack","",@progbits
	.addrsig
	.addrsig_sym __hip_cuid_148ad5c21d342a52
	.amdgpu_metadata
---
amdhsa.kernels:
  - .args:
      - .actual_access:  read_only
        .address_space:  global
        .offset:         0
        .size:           8
        .value_kind:     global_buffer
      - .offset:         8
        .size:           8
        .value_kind:     by_value
      - .actual_access:  read_only
        .address_space:  global
        .offset:         16
        .size:           8
        .value_kind:     global_buffer
      - .actual_access:  read_only
        .address_space:  global
        .offset:         24
        .size:           8
        .value_kind:     global_buffer
      - .offset:         32
        .size:           8
        .value_kind:     by_value
      - .actual_access:  read_only
        .address_space:  global
        .offset:         40
        .size:           8
        .value_kind:     global_buffer
      - .actual_access:  read_only
        .address_space:  global
        .offset:         48
        .size:           8
        .value_kind:     global_buffer
      - .offset:         56
        .size:           4
        .value_kind:     by_value
      - .actual_access:  read_only
        .address_space:  global
        .offset:         64
        .size:           8
        .value_kind:     global_buffer
      - .actual_access:  read_only
        .address_space:  global
        .offset:         72
        .size:           8
        .value_kind:     global_buffer
      - .address_space:  global
        .offset:         80
        .size:           8
        .value_kind:     global_buffer
    .group_segment_fixed_size: 0
    .kernarg_segment_align: 8
    .kernarg_segment_size: 88
    .language:       OpenCL C
    .language_version:
      - 2
      - 0
    .max_flat_workgroup_size: 200
    .name:           fft_rtc_fwd_len1600_factors_10_16_10_wgs_200_tpt_100_halfLds_half_ip_CI_unitstride_sbrr_dirReg
    .private_segment_fixed_size: 0
    .sgpr_count:     23
    .sgpr_spill_count: 0
    .symbol:         fft_rtc_fwd_len1600_factors_10_16_10_wgs_200_tpt_100_halfLds_half_ip_CI_unitstride_sbrr_dirReg.kd
    .uniform_work_group_size: 1
    .uses_dynamic_stack: false
    .vgpr_count:     91
    .vgpr_spill_count: 0
    .wavefront_size: 32
    .workgroup_processor_mode: 1
amdhsa.target:   amdgcn-amd-amdhsa--gfx1030
amdhsa.version:
  - 1
  - 2
...

	.end_amdgpu_metadata
